;; amdgpu-corpus repo=ROCm/rocFFT kind=compiled arch=gfx1030 opt=O3
	.text
	.amdgcn_target "amdgcn-amd-amdhsa--gfx1030"
	.amdhsa_code_object_version 6
	.protected	fft_rtc_fwd_len1176_factors_2_2_2_3_7_7_wgs_56_tpt_56_halfLds_sp_op_CI_CI_unitstride_sbrr_C2R_dirReg ; -- Begin function fft_rtc_fwd_len1176_factors_2_2_2_3_7_7_wgs_56_tpt_56_halfLds_sp_op_CI_CI_unitstride_sbrr_C2R_dirReg
	.globl	fft_rtc_fwd_len1176_factors_2_2_2_3_7_7_wgs_56_tpt_56_halfLds_sp_op_CI_CI_unitstride_sbrr_C2R_dirReg
	.p2align	8
	.type	fft_rtc_fwd_len1176_factors_2_2_2_3_7_7_wgs_56_tpt_56_halfLds_sp_op_CI_CI_unitstride_sbrr_C2R_dirReg,@function
fft_rtc_fwd_len1176_factors_2_2_2_3_7_7_wgs_56_tpt_56_halfLds_sp_op_CI_CI_unitstride_sbrr_C2R_dirReg: ; @fft_rtc_fwd_len1176_factors_2_2_2_3_7_7_wgs_56_tpt_56_halfLds_sp_op_CI_CI_unitstride_sbrr_C2R_dirReg
; %bb.0:
	s_clause 0x2
	s_load_dwordx4 s[12:15], s[4:5], 0x0
	s_load_dwordx4 s[8:11], s[4:5], 0x58
	;; [unrolled: 1-line block ×3, first 2 shown]
	v_mul_u32_u24_e32 v1, 0x493, v0
	v_mov_b32_e32 v3, 0
	v_add_nc_u32_sdwa v5, s6, v1 dst_sel:DWORD dst_unused:UNUSED_PAD src0_sel:DWORD src1_sel:WORD_1
	v_mov_b32_e32 v1, 0
	v_mov_b32_e32 v6, v3
	v_mov_b32_e32 v2, 0
	s_waitcnt lgkmcnt(0)
	v_cmp_lt_u64_e64 s0, s[14:15], 2
	s_and_b32 vcc_lo, exec_lo, s0
	s_cbranch_vccnz .LBB0_8
; %bb.1:
	s_load_dwordx2 s[0:1], s[4:5], 0x10
	v_mov_b32_e32 v1, 0
	v_mov_b32_e32 v2, 0
	s_add_u32 s2, s18, 8
	s_addc_u32 s3, s19, 0
	s_add_u32 s6, s16, 8
	s_addc_u32 s7, s17, 0
	v_mov_b32_e32 v41, v2
	v_mov_b32_e32 v40, v1
	s_mov_b64 s[22:23], 1
	s_waitcnt lgkmcnt(0)
	s_add_u32 s20, s0, 8
	s_addc_u32 s21, s1, 0
.LBB0_2:                                ; =>This Inner Loop Header: Depth=1
	s_load_dwordx2 s[24:25], s[20:21], 0x0
                                        ; implicit-def: $vgpr44_vgpr45
	s_mov_b32 s0, exec_lo
	s_waitcnt lgkmcnt(0)
	v_or_b32_e32 v4, s25, v6
	v_cmpx_ne_u64_e32 0, v[3:4]
	s_xor_b32 s1, exec_lo, s0
	s_cbranch_execz .LBB0_4
; %bb.3:                                ;   in Loop: Header=BB0_2 Depth=1
	v_cvt_f32_u32_e32 v4, s24
	v_cvt_f32_u32_e32 v7, s25
	s_sub_u32 s0, 0, s24
	s_subb_u32 s26, 0, s25
	v_fmac_f32_e32 v4, 0x4f800000, v7
	v_rcp_f32_e32 v4, v4
	v_mul_f32_e32 v4, 0x5f7ffffc, v4
	v_mul_f32_e32 v7, 0x2f800000, v4
	v_trunc_f32_e32 v7, v7
	v_fmac_f32_e32 v4, 0xcf800000, v7
	v_cvt_u32_f32_e32 v7, v7
	v_cvt_u32_f32_e32 v4, v4
	v_mul_lo_u32 v8, s0, v7
	v_mul_hi_u32 v9, s0, v4
	v_mul_lo_u32 v10, s26, v4
	v_add_nc_u32_e32 v8, v9, v8
	v_mul_lo_u32 v9, s0, v4
	v_add_nc_u32_e32 v8, v8, v10
	v_mul_hi_u32 v10, v4, v9
	v_mul_lo_u32 v11, v4, v8
	v_mul_hi_u32 v12, v4, v8
	v_mul_hi_u32 v13, v7, v9
	v_mul_lo_u32 v9, v7, v9
	v_mul_hi_u32 v14, v7, v8
	v_mul_lo_u32 v8, v7, v8
	v_add_co_u32 v10, vcc_lo, v10, v11
	v_add_co_ci_u32_e32 v11, vcc_lo, 0, v12, vcc_lo
	v_add_co_u32 v9, vcc_lo, v10, v9
	v_add_co_ci_u32_e32 v9, vcc_lo, v11, v13, vcc_lo
	v_add_co_ci_u32_e32 v10, vcc_lo, 0, v14, vcc_lo
	v_add_co_u32 v8, vcc_lo, v9, v8
	v_add_co_ci_u32_e32 v9, vcc_lo, 0, v10, vcc_lo
	v_add_co_u32 v4, vcc_lo, v4, v8
	v_add_co_ci_u32_e32 v7, vcc_lo, v7, v9, vcc_lo
	v_mul_hi_u32 v8, s0, v4
	v_mul_lo_u32 v10, s26, v4
	v_mul_lo_u32 v9, s0, v7
	v_add_nc_u32_e32 v8, v8, v9
	v_mul_lo_u32 v9, s0, v4
	v_add_nc_u32_e32 v8, v8, v10
	v_mul_hi_u32 v10, v4, v9
	v_mul_lo_u32 v11, v4, v8
	v_mul_hi_u32 v12, v4, v8
	v_mul_hi_u32 v13, v7, v9
	v_mul_lo_u32 v9, v7, v9
	v_mul_hi_u32 v14, v7, v8
	v_mul_lo_u32 v8, v7, v8
	v_add_co_u32 v10, vcc_lo, v10, v11
	v_add_co_ci_u32_e32 v11, vcc_lo, 0, v12, vcc_lo
	v_add_co_u32 v9, vcc_lo, v10, v9
	v_add_co_ci_u32_e32 v9, vcc_lo, v11, v13, vcc_lo
	v_add_co_ci_u32_e32 v10, vcc_lo, 0, v14, vcc_lo
	v_add_co_u32 v8, vcc_lo, v9, v8
	v_add_co_ci_u32_e32 v9, vcc_lo, 0, v10, vcc_lo
	v_add_co_u32 v4, vcc_lo, v4, v8
	v_add_co_ci_u32_e32 v11, vcc_lo, v7, v9, vcc_lo
	v_mul_hi_u32 v13, v5, v4
	v_mad_u64_u32 v[9:10], null, v6, v4, 0
	v_mad_u64_u32 v[7:8], null, v5, v11, 0
	;; [unrolled: 1-line block ×3, first 2 shown]
	v_add_co_u32 v4, vcc_lo, v13, v7
	v_add_co_ci_u32_e32 v7, vcc_lo, 0, v8, vcc_lo
	v_add_co_u32 v4, vcc_lo, v4, v9
	v_add_co_ci_u32_e32 v4, vcc_lo, v7, v10, vcc_lo
	v_add_co_ci_u32_e32 v7, vcc_lo, 0, v12, vcc_lo
	v_add_co_u32 v4, vcc_lo, v4, v11
	v_add_co_ci_u32_e32 v9, vcc_lo, 0, v7, vcc_lo
	v_mul_lo_u32 v10, s25, v4
	v_mad_u64_u32 v[7:8], null, s24, v4, 0
	v_mul_lo_u32 v11, s24, v9
	v_sub_co_u32 v7, vcc_lo, v5, v7
	v_add3_u32 v8, v8, v11, v10
	v_sub_nc_u32_e32 v10, v6, v8
	v_subrev_co_ci_u32_e64 v10, s0, s25, v10, vcc_lo
	v_add_co_u32 v11, s0, v4, 2
	v_add_co_ci_u32_e64 v12, s0, 0, v9, s0
	v_sub_co_u32 v13, s0, v7, s24
	v_sub_co_ci_u32_e32 v8, vcc_lo, v6, v8, vcc_lo
	v_subrev_co_ci_u32_e64 v10, s0, 0, v10, s0
	v_cmp_le_u32_e32 vcc_lo, s24, v13
	v_cmp_eq_u32_e64 s0, s25, v8
	v_cndmask_b32_e64 v13, 0, -1, vcc_lo
	v_cmp_le_u32_e32 vcc_lo, s25, v10
	v_cndmask_b32_e64 v14, 0, -1, vcc_lo
	v_cmp_le_u32_e32 vcc_lo, s24, v7
	;; [unrolled: 2-line block ×3, first 2 shown]
	v_cndmask_b32_e64 v15, 0, -1, vcc_lo
	v_cmp_eq_u32_e32 vcc_lo, s25, v10
	v_cndmask_b32_e64 v7, v15, v7, s0
	v_cndmask_b32_e32 v10, v14, v13, vcc_lo
	v_add_co_u32 v13, vcc_lo, v4, 1
	v_add_co_ci_u32_e32 v14, vcc_lo, 0, v9, vcc_lo
	v_cmp_ne_u32_e32 vcc_lo, 0, v10
	v_cndmask_b32_e32 v8, v14, v12, vcc_lo
	v_cndmask_b32_e32 v10, v13, v11, vcc_lo
	v_cmp_ne_u32_e32 vcc_lo, 0, v7
	v_cndmask_b32_e32 v45, v9, v8, vcc_lo
	v_cndmask_b32_e32 v44, v4, v10, vcc_lo
.LBB0_4:                                ;   in Loop: Header=BB0_2 Depth=1
	s_andn2_saveexec_b32 s0, s1
	s_cbranch_execz .LBB0_6
; %bb.5:                                ;   in Loop: Header=BB0_2 Depth=1
	v_cvt_f32_u32_e32 v4, s24
	s_sub_i32 s1, 0, s24
	v_mov_b32_e32 v45, v3
	v_rcp_iflag_f32_e32 v4, v4
	v_mul_f32_e32 v4, 0x4f7ffffe, v4
	v_cvt_u32_f32_e32 v4, v4
	v_mul_lo_u32 v7, s1, v4
	v_mul_hi_u32 v7, v4, v7
	v_add_nc_u32_e32 v4, v4, v7
	v_mul_hi_u32 v4, v5, v4
	v_mul_lo_u32 v7, v4, s24
	v_add_nc_u32_e32 v8, 1, v4
	v_sub_nc_u32_e32 v7, v5, v7
	v_subrev_nc_u32_e32 v9, s24, v7
	v_cmp_le_u32_e32 vcc_lo, s24, v7
	v_cndmask_b32_e32 v7, v7, v9, vcc_lo
	v_cndmask_b32_e32 v4, v4, v8, vcc_lo
	v_cmp_le_u32_e32 vcc_lo, s24, v7
	v_add_nc_u32_e32 v8, 1, v4
	v_cndmask_b32_e32 v44, v4, v8, vcc_lo
.LBB0_6:                                ;   in Loop: Header=BB0_2 Depth=1
	s_or_b32 exec_lo, exec_lo, s0
	v_mul_lo_u32 v4, v45, s24
	v_mul_lo_u32 v9, v44, s25
	s_load_dwordx2 s[0:1], s[6:7], 0x0
	v_mad_u64_u32 v[7:8], null, v44, s24, 0
	s_load_dwordx2 s[24:25], s[2:3], 0x0
	s_add_u32 s22, s22, 1
	s_addc_u32 s23, s23, 0
	s_add_u32 s2, s2, 8
	s_addc_u32 s3, s3, 0
	s_add_u32 s6, s6, 8
	v_add3_u32 v4, v8, v9, v4
	v_sub_co_u32 v5, vcc_lo, v5, v7
	s_addc_u32 s7, s7, 0
	s_add_u32 s20, s20, 8
	v_sub_co_ci_u32_e32 v4, vcc_lo, v6, v4, vcc_lo
	s_addc_u32 s21, s21, 0
	s_waitcnt lgkmcnt(0)
	v_mul_lo_u32 v6, s0, v4
	v_mul_lo_u32 v7, s1, v5
	v_mad_u64_u32 v[1:2], null, s0, v5, v[1:2]
	v_mul_lo_u32 v4, s24, v4
	v_mul_lo_u32 v8, s25, v5
	v_mad_u64_u32 v[40:41], null, s24, v5, v[40:41]
	v_cmp_ge_u64_e64 s0, s[22:23], s[14:15]
	v_add3_u32 v2, v7, v2, v6
	v_add3_u32 v41, v8, v41, v4
	s_and_b32 vcc_lo, exec_lo, s0
	s_cbranch_vccnz .LBB0_9
; %bb.7:                                ;   in Loop: Header=BB0_2 Depth=1
	v_mov_b32_e32 v5, v44
	v_mov_b32_e32 v6, v45
	s_branch .LBB0_2
.LBB0_8:
	v_mov_b32_e32 v41, v2
	v_mov_b32_e32 v45, v6
	;; [unrolled: 1-line block ×4, first 2 shown]
.LBB0_9:
	s_load_dwordx2 s[0:1], s[4:5], 0x28
	v_mul_hi_u32 v3, 0x4924925, v0
	s_lshl_b64 s[4:5], s[14:15], 3
                                        ; implicit-def: $vgpr42
	s_add_u32 s2, s18, s4
	s_addc_u32 s3, s19, s5
	s_waitcnt lgkmcnt(0)
	v_cmp_gt_u64_e32 vcc_lo, s[0:1], v[44:45]
	v_cmp_le_u64_e64 s0, s[0:1], v[44:45]
	s_and_saveexec_b32 s1, s0
	s_xor_b32 s0, exec_lo, s1
; %bb.10:
	v_mul_u32_u24_e32 v1, 56, v3
                                        ; implicit-def: $vgpr3
	v_sub_nc_u32_e32 v42, v0, v1
                                        ; implicit-def: $vgpr0
                                        ; implicit-def: $vgpr1_vgpr2
; %bb.11:
	s_or_saveexec_b32 s1, s0
	s_load_dwordx2 s[2:3], s[2:3], 0x0
	s_xor_b32 exec_lo, exec_lo, s1
	s_cbranch_execz .LBB0_15
; %bb.12:
	s_add_u32 s4, s16, s4
	s_addc_u32 s5, s17, s5
	v_mul_u32_u24_e32 v3, 56, v3
	s_load_dwordx2 s[4:5], s[4:5], 0x0
	v_sub_nc_u32_e32 v42, v0, v3
	v_lshlrev_b64 v[0:1], 3, v[1:2]
	v_lshlrev_b32_e32 v43, 3, v42
	s_waitcnt lgkmcnt(0)
	v_mul_lo_u32 v6, s5, v44
	v_mul_lo_u32 v7, s4, v45
	v_mad_u64_u32 v[4:5], null, s4, v44, 0
	s_mov_b32 s4, exec_lo
	v_add3_u32 v5, v5, v7, v6
	v_or_b32_e32 v6, 0x1c00, v43
	v_lshlrev_b64 v[3:4], 3, v[4:5]
	v_add_co_u32 v2, s0, s8, v3
	v_add_co_ci_u32_e64 v3, s0, s9, v4, s0
	v_or_b32_e32 v4, 0xe00, v43
	v_add_co_u32 v0, s0, v2, v0
	v_add_co_ci_u32_e64 v1, s0, v3, v1, s0
	v_add_co_u32 v2, s0, v0, v43
	v_add_co_ci_u32_e64 v3, s0, 0, v1, s0
	;; [unrolled: 2-line block ×8, first 2 shown]
	s_clause 0x14
	global_load_dwordx2 v[8:9], v[2:3], off
	global_load_dwordx2 v[10:11], v[2:3], off offset:448
	global_load_dwordx2 v[12:13], v[2:3], off offset:896
	;; [unrolled: 1-line block ×9, first 2 shown]
	global_load_dwordx2 v[4:5], v[4:5], off
	global_load_dwordx2 v[16:17], v[16:17], off offset:1984
	global_load_dwordx2 v[34:35], v[18:19], off offset:1280
	;; [unrolled: 1-line block ×7, first 2 shown]
	global_load_dwordx2 v[6:7], v[6:7], off
	global_load_dwordx2 v[20:21], v[20:21], off offset:1920
	global_load_dwordx2 v[22:23], v[22:23], off offset:768
	v_add_nc_u32_e32 v43, 0, v43
	v_add_nc_u32_e32 v50, 0x400, v43
	;; [unrolled: 1-line block ×6, first 2 shown]
	s_waitcnt vmcnt(19)
	ds_write2_b64 v43, v[8:9], v[10:11] offset1:56
	s_waitcnt vmcnt(17)
	ds_write2_b64 v43, v[12:13], v[14:15] offset0:112 offset1:168
	s_waitcnt vmcnt(15)
	ds_write2_b64 v50, v[2:3], v[24:25] offset0:96 offset1:152
	;; [unrolled: 2-line block ×4, first 2 shown]
	ds_write2_b64 v52, v[30:31], v[32:33] offset0:48 offset1:104
	s_waitcnt vmcnt(7)
	ds_write2_b64 v52, v[34:35], v[18:19] offset0:160 offset1:216
	s_waitcnt vmcnt(5)
	;; [unrolled: 2-line block ×5, first 2 shown]
	ds_write_b64 v43, v[22:23] offset:8960
	v_cmpx_eq_u32_e32 55, v42
	s_cbranch_execz .LBB0_14
; %bb.13:
	v_add_co_u32 v0, s0, 0x2000, v0
	v_add_co_ci_u32_e64 v1, s0, 0, v1, s0
	v_mov_b32_e32 v2, 0
	v_mov_b32_e32 v42, 55
	global_load_dwordx2 v[0:1], v[0:1], off offset:1216
	s_waitcnt vmcnt(0)
	ds_write_b64 v2, v[0:1] offset:9408
.LBB0_14:
	s_or_b32 exec_lo, exec_lo, s4
.LBB0_15:
	s_or_b32 exec_lo, exec_lo, s1
	v_lshlrev_b32_e32 v0, 3, v42
	s_waitcnt lgkmcnt(0)
	s_barrier
	buffer_gl0_inv
	s_add_u32 s1, s12, 0x24b0
	v_add_nc_u32_e32 v52, 0, v0
	v_sub_nc_u32_e32 v4, 0, v0
	s_addc_u32 s4, s13, 0
	s_mov_b32 s5, exec_lo
                                        ; implicit-def: $vgpr0_vgpr1
	ds_read_b32 v5, v52
	ds_read_b32 v6, v4 offset:9408
	s_waitcnt lgkmcnt(0)
	v_add_f32_e32 v2, v6, v5
	v_sub_f32_e32 v3, v5, v6
	v_cmpx_ne_u32_e32 0, v42
	s_xor_b32 s5, exec_lo, s5
	s_cbranch_execz .LBB0_17
; %bb.16:
	v_mov_b32_e32 v43, 0
	v_add_f32_e32 v7, v6, v5
	v_sub_f32_e32 v8, v5, v6
	v_lshlrev_b64 v[0:1], 3, v[42:43]
	v_add_co_u32 v0, s0, s1, v0
	v_add_co_ci_u32_e64 v1, s0, s4, v1, s0
	global_load_dwordx2 v[0:1], v[0:1], off
	ds_read_b32 v2, v4 offset:9412
	ds_read_b32 v3, v52 offset:4
	s_waitcnt lgkmcnt(0)
	v_add_f32_e32 v9, v2, v3
	v_sub_f32_e32 v2, v3, v2
	s_waitcnt vmcnt(0)
	v_fma_f32 v5, -v8, v1, v7
	v_fma_f32 v6, v9, v1, -v2
	v_fma_f32 v10, v8, v1, v7
	v_fma_f32 v3, v9, v1, v2
	v_fmac_f32_e32 v5, v0, v9
	v_fmac_f32_e32 v6, v8, v0
	v_fma_f32 v2, -v0, v9, v10
	v_fmac_f32_e32 v3, v8, v0
	v_mov_b32_e32 v0, v42
	v_mov_b32_e32 v1, v43
	ds_write_b64 v4, v[5:6] offset:9408
.LBB0_17:
	s_andn2_saveexec_b32 s0, s5
	s_cbranch_execz .LBB0_19
; %bb.18:
	v_mov_b32_e32 v7, 0
	ds_read_b64 v[0:1], v7 offset:4704
	s_waitcnt lgkmcnt(0)
	v_add_f32_e32 v5, v0, v0
	v_mul_f32_e32 v6, -2.0, v1
	v_mov_b32_e32 v0, 0
	v_mov_b32_e32 v1, 0
	ds_write_b64 v7, v[5:6] offset:4704
.LBB0_19:
	s_or_b32 exec_lo, exec_lo, s0
	v_lshlrev_b64 v[0:1], 3, v[0:1]
	v_or_b32_e32 v48, 0x1c0, v42
	v_mov_b32_e32 v49, 0
	v_add_co_u32 v0, s0, s1, v0
	v_add_co_ci_u32_e64 v1, s0, s4, v1, s0
	v_lshlrev_b64 v[21:22], 3, v[48:49]
	v_add_co_u32 v13, s0, 0x800, v0
	s_clause 0x3
	global_load_dwordx2 v[5:6], v[0:1], off offset:448
	global_load_dwordx2 v[7:8], v[0:1], off offset:896
	;; [unrolled: 1-line block ×4, first 2 shown]
	v_add_co_ci_u32_e64 v14, s0, 0, v1, s0
	v_add_co_u32 v21, s0, s1, v21
	s_clause 0x2
	global_load_dwordx2 v[15:16], v[13:14], off offset:192
	global_load_dwordx2 v[17:18], v[13:14], off offset:640
	;; [unrolled: 1-line block ×3, first 2 shown]
	v_add_co_ci_u32_e64 v22, s0, s4, v22, s0
	ds_write_b64 v52, v[2:3]
	ds_read_b64 v[2:3], v52 offset:448
	ds_read_b64 v[23:24], v4 offset:8960
	v_cmp_gt_u32_e64 s0, 28, v42
	global_load_dwordx2 v[21:22], v[21:22], off
	s_waitcnt lgkmcnt(0)
	v_add_f32_e32 v25, v2, v23
	v_add_f32_e32 v26, v24, v3
	v_sub_f32_e32 v27, v2, v23
	v_sub_f32_e32 v2, v3, v24
	s_waitcnt vmcnt(7)
	v_fma_f32 v28, v27, v6, v25
	v_fma_f32 v3, v26, v6, v2
	v_fma_f32 v23, -v27, v6, v25
	v_fma_f32 v24, v26, v6, -v2
	v_fma_f32 v2, -v5, v26, v28
	v_fmac_f32_e32 v3, v27, v5
	v_fmac_f32_e32 v23, v5, v26
	v_fmac_f32_e32 v24, v27, v5
	ds_write_b64 v52, v[2:3] offset:448
	ds_write_b64 v4, v[23:24] offset:8960
	ds_read_b64 v[2:3], v52 offset:896
	ds_read_b64 v[5:6], v4 offset:8512
	global_load_dwordx2 v[13:14], v[13:14], off offset:1984
	s_waitcnt lgkmcnt(0)
	v_add_f32_e32 v23, v2, v5
	v_add_f32_e32 v24, v6, v3
	v_sub_f32_e32 v25, v2, v5
	v_sub_f32_e32 v2, v3, v6
	s_waitcnt vmcnt(7)
	v_fma_f32 v26, v25, v8, v23
	v_fma_f32 v3, v24, v8, v2
	v_fma_f32 v5, -v25, v8, v23
	v_fma_f32 v6, v24, v8, -v2
	v_fma_f32 v2, -v7, v24, v26
	v_fmac_f32_e32 v3, v25, v7
	v_fmac_f32_e32 v5, v7, v24
	v_fmac_f32_e32 v6, v25, v7
	ds_write_b64 v52, v[2:3] offset:896
	ds_write_b64 v4, v[5:6] offset:8512
	ds_read_b64 v[2:3], v52 offset:1344
	ds_read_b64 v[5:6], v4 offset:8064
	s_waitcnt lgkmcnt(0)
	v_add_f32_e32 v7, v2, v5
	v_add_f32_e32 v8, v6, v3
	v_sub_f32_e32 v23, v2, v5
	v_sub_f32_e32 v2, v3, v6
	s_waitcnt vmcnt(6)
	v_fma_f32 v24, v23, v10, v7
	v_fma_f32 v3, v8, v10, v2
	v_fma_f32 v5, -v23, v10, v7
	v_fma_f32 v6, v8, v10, -v2
	v_fma_f32 v2, -v9, v8, v24
	v_fmac_f32_e32 v3, v23, v9
	v_fmac_f32_e32 v5, v9, v8
	v_fmac_f32_e32 v6, v23, v9
	ds_write_b64 v52, v[2:3] offset:1344
	ds_write_b64 v4, v[5:6] offset:8064
	ds_read_b64 v[2:3], v52 offset:1792
	ds_read_b64 v[5:6], v4 offset:7616
	;; [unrolled: 18-line block ×7, first 2 shown]
	s_waitcnt lgkmcnt(0)
	v_add_f32_e32 v7, v2, v5
	v_add_f32_e32 v8, v6, v3
	v_sub_f32_e32 v9, v2, v5
	v_sub_f32_e32 v2, v3, v6
	s_waitcnt vmcnt(0)
	v_fma_f32 v10, v9, v14, v7
	v_fma_f32 v3, v8, v14, v2
	v_fma_f32 v5, -v9, v14, v7
	v_fma_f32 v6, v8, v14, -v2
	v_fma_f32 v2, -v13, v8, v10
	v_fmac_f32_e32 v3, v9, v13
	v_fmac_f32_e32 v5, v13, v8
	;; [unrolled: 1-line block ×3, first 2 shown]
	ds_write_b64 v52, v[2:3] offset:4032
	ds_write_b64 v4, v[5:6] offset:5376
	s_and_saveexec_b32 s4, s0
	s_cbranch_execz .LBB0_21
; %bb.20:
	v_add_co_u32 v0, s1, 0x1000, v0
	v_add_co_ci_u32_e64 v1, s1, 0, v1, s1
	global_load_dwordx2 v[0:1], v[0:1], off offset:384
	ds_read_b64 v[2:3], v52 offset:4480
	ds_read_b64 v[5:6], v4 offset:4928
	s_waitcnt lgkmcnt(0)
	v_add_f32_e32 v7, v2, v5
	v_add_f32_e32 v8, v6, v3
	v_sub_f32_e32 v9, v2, v5
	v_sub_f32_e32 v3, v3, v6
	s_waitcnt vmcnt(0)
	v_fma_f32 v10, v9, v1, v7
	v_fma_f32 v2, v8, v1, v3
	v_fma_f32 v5, -v9, v1, v7
	v_fma_f32 v6, v8, v1, -v3
	v_fma_f32 v1, -v0, v8, v10
	v_fmac_f32_e32 v2, v9, v0
	v_fmac_f32_e32 v5, v0, v8
	;; [unrolled: 1-line block ×3, first 2 shown]
	ds_write_b64 v52, v[1:2] offset:4480
	ds_write_b64 v4, v[5:6] offset:4928
.LBB0_21:
	s_or_b32 exec_lo, exec_lo, s4
	v_add_nc_u32_e32 v8, 0x1000, v52
	s_waitcnt lgkmcnt(0)
	s_barrier
	buffer_gl0_inv
	s_barrier
	buffer_gl0_inv
	ds_read2_b64 v[0:3], v52 offset1:56
	ds_read2_b64 v[4:7], v8 offset0:48 offset1:76
	ds_read2_b64 v[10:13], v8 offset0:132 offset1:188
	v_add_nc_u32_e32 v9, 0x1400, v52
	v_add_nc_u32_e32 v16, 0x1800, v52
	;; [unrolled: 1-line block ×5, first 2 shown]
	ds_read2_b64 v[22:25], v9 offset0:116 offset1:172
	v_add_nc_u32_e32 v9, 0x400, v52
	ds_read2_b64 v[18:21], v52 offset0:112 offset1:168
	ds_read2_b64 v[26:29], v9 offset0:96 offset1:152
	;; [unrolled: 1-line block ×6, first 2 shown]
	v_lshl_add_u32 v37, v42, 4, 0
	v_add_nc_u32_e32 v53, 56, v42
	v_add_nc_u32_e32 v43, 0x70, v42
	;; [unrolled: 1-line block ×4, first 2 shown]
	s_waitcnt lgkmcnt(8)
	v_sub_f32_e32 v6, v0, v6
	v_sub_f32_e32 v7, v1, v7
	s_waitcnt lgkmcnt(7)
	v_sub_f32_e32 v10, v2, v10
	v_sub_f32_e32 v11, v3, v11
	v_lshl_add_u32 v39, v53, 4, 0
	v_fma_f32 v14, v0, 2.0, -v6
	v_fma_f32 v15, v1, 2.0, -v7
	;; [unrolled: 1-line block ×4, first 2 shown]
	ds_read2_b64 v[0:3], v36 offset0:68 offset1:124
	s_waitcnt lgkmcnt(5)
	v_sub_f32_e32 v25, v27, v25
	v_sub_f32_e32 v24, v26, v24
	s_waitcnt lgkmcnt(0)
	s_barrier
	buffer_gl0_inv
	ds_write2_b64 v37, v[14:15], v[6:7] offset1:1
	v_sub_f32_e32 v15, v29, v31
	v_sub_f32_e32 v31, v57, v59
	;; [unrolled: 1-line block ×6, first 2 shown]
	v_fma_f32 v7, v27, 2.0, -v25
	v_sub_f32_e32 v27, v55, v33
	v_sub_f32_e32 v22, v20, v22
	;; [unrolled: 1-line block ×3, first 2 shown]
	v_fma_f32 v6, v26, 2.0, -v24
	v_sub_f32_e32 v26, v54, v32
	v_fma_f32 v38, v57, 2.0, -v31
	v_sub_f32_e32 v49, v4, v2
	v_add_nc_u32_e32 v57, 0xa8, v42
	v_sub_f32_e32 v50, v5, v3
	v_fma_f32 v37, v56, 2.0, -v30
	v_add_nc_u32_e32 v56, 0xe0, v42
	v_fma_f32 v18, v18, 2.0, -v12
	v_fma_f32 v19, v19, 2.0, -v13
	;; [unrolled: 1-line block ×3, first 2 shown]
	v_add_nc_u32_e32 v55, 0x118, v42
	v_fma_f32 v46, v4, 2.0, -v49
	v_lshl_add_u32 v4, v43, 4, 0
	v_fma_f32 v20, v20, 2.0, -v22
	v_fma_f32 v21, v21, 2.0, -v23
	;; [unrolled: 1-line block ×4, first 2 shown]
	v_add_nc_u32_e32 v54, 0x150, v42
	v_lshl_add_u32 v5, v57, 4, 0
	ds_write2_b64 v39, v[34:35], v[10:11] offset1:1
	v_lshl_add_u32 v10, v56, 4, 0
	v_sub_f32_e32 v59, v62, v60
	v_sub_f32_e32 v60, v63, v61
	;; [unrolled: 1-line block ×4, first 2 shown]
	v_add_nc_u32_e32 v58, 0x1f8, v42
	v_fma_f32 v28, v28, 2.0, -v14
	v_fma_f32 v29, v29, 2.0, -v15
	ds_write2_b64 v4, v[18:19], v[12:13] offset1:1
	ds_write2_b64 v5, v[20:21], v[22:23] offset1:1
	;; [unrolled: 1-line block ×3, first 2 shown]
	v_lshl_add_u32 v4, v55, 4, 0
	v_lshl_add_u32 v5, v54, 4, 0
	;; [unrolled: 1-line block ×3, first 2 shown]
	v_fma_f32 v2, v62, 2.0, -v59
	v_fma_f32 v3, v63, 2.0, -v60
	v_lshl_add_u32 v7, v48, 4, 0
	v_fma_f32 v61, v64, 2.0, -v0
	v_fma_f32 v62, v65, 2.0, -v1
	v_lshl_add_u32 v10, v58, 4, 0
	ds_write2_b64 v4, v[28:29], v[14:15] offset1:1
	ds_write2_b64 v5, v[32:33], v[26:27] offset1:1
	;; [unrolled: 1-line block ×5, first 2 shown]
	s_and_saveexec_b32 s1, s0
	s_cbranch_execz .LBB0_23
; %bb.22:
	v_lshl_add_u32 v0, v68, 4, 0
	ds_write2_b64 v0, v[46:47], v[49:50] offset1:1
.LBB0_23:
	s_or_b32 exec_lo, exec_lo, s1
	s_waitcnt lgkmcnt(0)
	s_barrier
	buffer_gl0_inv
	ds_read2_b64 v[0:3], v52 offset1:56
	ds_read2_b64 v[20:23], v8 offset0:76 offset1:132
	ds_read2_b64 v[4:7], v52 offset0:112 offset1:168
	;; [unrolled: 1-line block ×9, first 2 shown]
	v_lshlrev_b32_e32 v67, 1, v42
	v_lshlrev_b32_e32 v66, 1, v53
	;; [unrolled: 1-line block ×10, first 2 shown]
	s_and_saveexec_b32 s1, s0
	s_cbranch_execz .LBB0_25
; %bb.24:
	ds_read_b64 v[46:47], v52 offset:4480
	ds_read_b64 v[49:50], v52 offset:9184
.LBB0_25:
	s_or_b32 exec_lo, exec_lo, s1
	v_and_b32_e32 v51, 1, v42
	v_lshlrev_b32_e32 v68, 1, v68
	v_lshlrev_b32_e32 v48, 3, v51
	v_and_or_b32 v71, 0xfc, v66, v51
	v_and_or_b32 v72, 0x1fc, v65, v51
	;; [unrolled: 1-line block ×4, first 2 shown]
	global_load_dwordx2 v[69:70], v48, s[12:13]
	v_and_or_b32 v48, 0x7c, v67, v51
	v_and_or_b32 v75, 0x2fc, v62, v51
	;; [unrolled: 1-line block ×5, first 2 shown]
	v_lshl_add_u32 v80, v48, 3, 0
	v_and_or_b32 v79, 0x7fc, v58, v51
	v_lshl_add_u32 v71, v71, 3, 0
	v_lshl_add_u32 v72, v72, 3, 0
	v_lshl_add_u32 v73, v73, 3, 0
	v_lshl_add_u32 v74, v74, 3, 0
	s_waitcnt vmcnt(0) lgkmcnt(0)
	s_barrier
	buffer_gl0_inv
	v_lshl_add_u32 v75, v75, 3, 0
	v_lshl_add_u32 v76, v76, 3, 0
	;; [unrolled: 1-line block ×5, first 2 shown]
	v_mul_f32_e32 v48, v70, v21
	v_mul_f32_e32 v81, v70, v20
	;; [unrolled: 1-line block ×22, first 2 shown]
	v_fma_f32 v20, v69, v20, -v48
	v_fmac_f32_e32 v81, v69, v21
	v_fma_f32 v22, v69, v22, -v82
	v_fma_f32 v48, v49, v69, -v100
	v_fmac_f32_e32 v70, v50, v69
	v_fmac_f32_e32 v83, v69, v23
	v_fma_f32 v24, v69, v24, -v84
	v_fmac_f32_e32 v85, v69, v25
	v_fma_f32 v26, v69, v26, -v86
	;; [unrolled: 2-line block ×8, first 2 shown]
	v_fmac_f32_e32 v99, v69, v39
	v_sub_f32_e32 v20, v0, v20
	v_sub_f32_e32 v21, v1, v81
	;; [unrolled: 1-line block ×22, first 2 shown]
	v_fma_f32 v0, v0, 2.0, -v20
	v_fma_f32 v1, v1, 2.0, -v21
	;; [unrolled: 1-line block ×22, first 2 shown]
	ds_write2_b64 v80, v[0:1], v[20:21] offset1:2
	ds_write2_b64 v71, v[2:3], v[22:23] offset1:2
	;; [unrolled: 1-line block ×10, first 2 shown]
	s_and_saveexec_b32 s1, s0
	s_cbranch_execz .LBB0_27
; %bb.26:
	v_and_or_b32 v0, 0x4fc, v68, v51
	v_lshl_add_u32 v0, v0, 3, 0
	ds_write2_b64 v0, v[46:47], v[48:49] offset1:2
.LBB0_27:
	s_or_b32 exec_lo, exec_lo, s1
	v_add_nc_u32_e32 v8, 0x1000, v52
	v_add_nc_u32_e32 v12, 0x1800, v52
	;; [unrolled: 1-line block ×5, first 2 shown]
	s_waitcnt lgkmcnt(0)
	s_barrier
	buffer_gl0_inv
	ds_read2_b64 v[0:3], v52 offset1:56
	ds_read2_b64 v[20:23], v8 offset0:76 offset1:132
	ds_read2_b64 v[4:7], v52 offset0:112 offset1:168
	;; [unrolled: 1-line block ×9, first 2 shown]
	s_and_saveexec_b32 s1, s0
	s_cbranch_execz .LBB0_29
; %bb.28:
	ds_read_b64 v[46:47], v52 offset:4480
	ds_read_b64 v[48:49], v52 offset:9184
.LBB0_29:
	s_or_b32 exec_lo, exec_lo, s1
	v_and_b32_e32 v69, 3, v42
	v_lshlrev_b32_e32 v50, 3, v69
	v_and_or_b32 v67, 0x78, v67, v69
	v_and_or_b32 v66, 0xf8, v66, v69
	;; [unrolled: 1-line block ×4, first 2 shown]
	global_load_dwordx2 v[50:51], v50, s[12:13] offset:16
	v_and_or_b32 v63, 0x3f8, v63, v69
	v_and_or_b32 v62, 0x2f8, v62, v69
	;; [unrolled: 1-line block ×6, first 2 shown]
	v_lshl_add_u32 v67, v67, 3, 0
	v_lshl_add_u32 v66, v66, 3, 0
	;; [unrolled: 1-line block ×5, first 2 shown]
	s_waitcnt vmcnt(0) lgkmcnt(0)
	s_barrier
	buffer_gl0_inv
	v_lshl_add_u32 v62, v62, 3, 0
	v_lshl_add_u32 v61, v61, 3, 0
	;; [unrolled: 1-line block ×5, first 2 shown]
	v_mul_f32_e32 v70, v51, v21
	v_mul_f32_e32 v71, v51, v20
	;; [unrolled: 1-line block ×20, first 2 shown]
	v_fma_f32 v20, v50, v20, -v70
	v_fmac_f32_e32 v71, v50, v21
	v_fma_f32 v22, v50, v22, -v72
	v_fmac_f32_e32 v73, v50, v23
	;; [unrolled: 2-line block ×10, first 2 shown]
	v_sub_f32_e32 v20, v0, v20
	v_sub_f32_e32 v21, v1, v71
	;; [unrolled: 1-line block ×20, first 2 shown]
	v_fma_f32 v0, v0, 2.0, -v20
	v_fma_f32 v1, v1, 2.0, -v21
	;; [unrolled: 1-line block ×20, first 2 shown]
	ds_write2_b64 v67, v[0:1], v[20:21] offset1:4
	ds_write2_b64 v66, v[2:3], v[22:23] offset1:4
	;; [unrolled: 1-line block ×10, first 2 shown]
	s_and_saveexec_b32 s1, s0
	s_cbranch_execz .LBB0_31
; %bb.30:
	v_mul_f32_e32 v0, v48, v51
	v_mul_f32_e32 v1, v49, v51
	v_and_or_b32 v4, 0x4f8, v68, v69
	v_fmac_f32_e32 v0, v49, v50
	v_fma_f32 v2, v48, v50, -v1
	v_lshl_add_u32 v4, v4, 3, 0
	v_sub_f32_e32 v1, v47, v0
	v_sub_f32_e32 v0, v46, v2
	v_fma_f32 v3, v47, 2.0, -v1
	v_fma_f32 v2, v46, 2.0, -v0
	ds_write2_b64 v4, v[2:3], v[0:1] offset1:4
.LBB0_31:
	s_or_b32 exec_lo, exec_lo, s1
	v_and_b32_e32 v14, 7, v42
	s_waitcnt lgkmcnt(0)
	s_barrier
	buffer_gl0_inv
	v_lshrrev_b32_e32 v33, 3, v42
	v_lshlrev_b32_e32 v0, 4, v14
	v_and_b32_e32 v50, 0xff, v42
	v_lshrrev_b32_e32 v34, 3, v53
	v_add_nc_u32_e32 v29, 0x800, v52
	v_mul_u32_u24_e32 v71, 24, v33
	global_load_dwordx4 v[8:11], v0, s[12:13] offset:48
	v_mul_lo_u16 v33, 0xab, v50
	v_and_b32_e32 v51, 0xff, v53
	v_mul_u32_u24_e32 v34, 24, v34
	v_add_nc_u32_e32 v28, 0x1800, v52
	v_lshrrev_b32_e32 v35, 3, v43
	v_lshrrev_b16 v33, 12, v33
	v_lshrrev_b32_e32 v36, 3, v57
	v_add_nc_u32_e32 v30, 0x1000, v52
	ds_read2_b64 v[4:7], v52 offset1:56
	ds_read2_b64 v[0:3], v52 offset0:112 offset1:168
	v_add_nc_u32_e32 v31, 0x400, v52
	v_add_nc_u32_e32 v32, 0x1c00, v52
	ds_read_b64 v[12:13], v52 offset:8960
	v_lshrrev_b32_e32 v37, 3, v56
	v_lshrrev_b32_e32 v38, 3, v55
	;; [unrolled: 1-line block ×3, first 2 shown]
	ds_read2_b64 v[16:19], v29 offset0:80 offset1:136
	ds_read2_b64 v[20:23], v28 offset0:16 offset1:72
	;; [unrolled: 1-line block ×8, first 2 shown]
	v_mul_lo_u16 v50, 0xab, v51
	v_or_b32_e32 v51, v71, v14
	v_or_b32_e32 v71, v34, v14
	v_mul_lo_u16 v34, v33, 24
	v_mul_u32_u24_e32 v35, 24, v35
	v_mul_u32_u24_e32 v36, 24, v36
	v_mov_b32_e32 v15, 6
	v_mul_u32_u24_e32 v37, 24, v37
	v_mul_u32_u24_e32 v38, 24, v38
	v_sub_nc_u16 v34, v42, v34
	v_or_b32_e32 v72, v35, v14
	v_or_b32_e32 v36, v36, v14
	v_lshrrev_b16 v35, 12, v50
	v_mul_u32_u24_e32 v39, 24, v39
	v_or_b32_e32 v37, v37, v14
	v_or_b32_e32 v38, v38, v14
	v_mul_u32_u24_sdwa v50, v34, v15 dst_sel:DWORD dst_unused:UNUSED_PAD src0_sel:BYTE_0 src1_sel:DWORD
	v_lshl_add_u32 v73, v36, 3, 0
	v_mul_lo_u16 v36, v35, 24
	v_or_b32_e32 v14, v39, v14
	v_lshl_add_u32 v39, v51, 3, 0
	v_lshl_add_u32 v74, v37, 3, 0
	;; [unrolled: 1-line block ×3, first 2 shown]
	v_lshlrev_b32_e32 v76, 3, v50
	v_sub_nc_u16 v36, v53, v36
	v_and_b32_e32 v70, 0xff, v43
	v_lshl_add_u32 v71, v71, 3, 0
	v_lshl_add_u32 v72, v72, 3, 0
	s_waitcnt vmcnt(0) lgkmcnt(0)
	s_barrier
	buffer_gl0_inv
	v_lshl_add_u32 v14, v14, 3, 0
	v_mul_f32_e32 v37, v9, v19
	v_mul_f32_e32 v38, v9, v18
	;; [unrolled: 1-line block ×28, first 2 shown]
	v_fma_f32 v11, v10, v20, -v50
	v_fmac_f32_e32 v51, v10, v21
	v_fma_f32 v18, v8, v18, -v37
	v_fmac_f32_e32 v38, v8, v19
	;; [unrolled: 2-line block ×14, first 2 shown]
	v_add_f32_e32 v10, v18, v11
	v_add_f32_e32 v13, v38, v51
	v_sub_f32_e32 v48, v38, v51
	v_add_f32_e32 v12, v5, v38
	v_add_f32_e32 v38, v19, v20
	;; [unrolled: 1-line block ×6, first 2 shown]
	v_sub_f32_e32 v49, v18, v11
	v_add_f32_e32 v18, v6, v19
	v_sub_f32_e32 v50, v77, v79
	v_add_f32_e32 v53, v7, v77
	;; [unrolled: 2-line block ×5, first 2 shown]
	v_add_f32_e32 v65, v23, v24
	v_add_f32_e32 v68, v85, v87
	v_sub_f32_e32 v69, v23, v24
	v_add_f32_e32 v23, v58, v25
	v_add_f32_e32 v77, v25, v26
	;; [unrolled: 1-line block ×3, first 2 shown]
	v_sub_f32_e32 v82, v25, v26
	v_add_f32_e32 v25, v60, v27
	v_add_f32_e32 v84, v27, v37
	;; [unrolled: 1-line block ×5, first 2 shown]
	v_fma_f32 v4, -0.5, v10, v4
	v_fma_f32 v5, -0.5, v13, v5
	v_sub_f32_e32 v78, v89, v91
	v_add_f32_e32 v80, v59, v89
	v_sub_f32_e32 v89, v27, v37
	v_add_f32_e32 v27, v16, v46
	v_fma_f32 v6, -0.5, v38, v6
	v_fmac_f32_e32 v7, -0.5, v54
	v_fma_f32 v0, -0.5, v56, v0
	v_fma_f32 v1, -0.5, v63, v1
	v_sub_f32_e32 v66, v85, v87
	v_add_f32_e32 v67, v3, v85
	v_sub_f32_e32 v85, v93, v95
	v_add_f32_e32 v86, v61, v93
	;; [unrolled: 2-line block ×4, first 2 shown]
	v_add_f32_e32 v9, v12, v51
	v_add_f32_e32 v10, v18, v20
	;; [unrolled: 1-line block ×4, first 2 shown]
	v_fma_f32 v2, -0.5, v65, v2
	v_fmac_f32_e32 v3, -0.5, v68
	v_add_f32_e32 v20, v23, v26
	v_fma_f32 v22, -0.5, v77, v58
	v_fma_f32 v23, -0.5, v81, v59
	v_add_f32_e32 v24, v25, v37
	v_fma_f32 v60, -0.5, v84, v60
	v_fmac_f32_e32 v61, -0.5, v88
	v_fma_f32 v16, -0.5, v90, v16
	v_fmac_f32_e32 v17, -0.5, v94
	v_fmamk_f32 v37, v48, 0x3f5db3d7, v4
	v_fmamk_f32 v38, v49, 0xbf5db3d7, v5
	v_fmac_f32_e32 v4, 0xbf5db3d7, v48
	v_fmac_f32_e32 v5, 0x3f5db3d7, v49
	v_add_f32_e32 v11, v53, v79
	v_add_f32_e32 v26, v27, v47
	v_fmamk_f32 v46, v50, 0x3f5db3d7, v6
	v_fmamk_f32 v47, v55, 0xbf5db3d7, v7
	v_fmac_f32_e32 v6, 0xbf5db3d7, v50
	v_fmac_f32_e32 v7, 0x3f5db3d7, v55
	v_add_f32_e32 v13, v62, v83
	v_fmamk_f32 v48, v57, 0x3f5db3d7, v0
	v_fmac_f32_e32 v0, 0xbf5db3d7, v57
	v_fmamk_f32 v49, v64, 0xbf5db3d7, v1
	v_add_f32_e32 v19, v67, v87
	v_add_f32_e32 v21, v80, v91
	;; [unrolled: 1-line block ×4, first 2 shown]
	v_fmac_f32_e32 v1, 0x3f5db3d7, v64
	v_fmamk_f32 v50, v66, 0x3f5db3d7, v2
	v_fmac_f32_e32 v2, 0xbf5db3d7, v66
	v_fmamk_f32 v51, v69, 0xbf5db3d7, v3
	;; [unrolled: 2-line block ×8, first 2 shown]
	v_fmac_f32_e32 v17, 0x3f5db3d7, v96
	ds_write2_b64 v39, v[8:9], v[37:38] offset1:8
	ds_write_b64 v39, v[4:5] offset:128
	ds_write2_b64 v71, v[10:11], v[46:47] offset1:8
	ds_write_b64 v71, v[6:7] offset:128
	;; [unrolled: 2-line block ×7, first 2 shown]
	v_mul_lo_u16 v0, 0xab, v70
	v_mul_u32_u24_sdwa v1, v36, v15 dst_sel:DWORD dst_unused:UNUSED_PAD src0_sel:BYTE_0 src1_sel:DWORD
	s_waitcnt lgkmcnt(0)
	s_barrier
	buffer_gl0_inv
	v_lshrrev_b16 v37, 12, v0
	v_lshlrev_b32_e32 v0, 3, v1
	s_clause 0x2
	global_load_dwordx4 v[46:49], v76, s[12:13] offset:176
	global_load_dwordx4 v[53:56], v76, s[12:13] offset:192
	;; [unrolled: 1-line block ×3, first 2 shown]
	v_mul_lo_u16 v1, v37, 24
	s_clause 0x2
	global_load_dwordx4 v[20:23], v0, s[12:13] offset:176
	global_load_dwordx4 v[16:19], v0, s[12:13] offset:192
	;; [unrolled: 1-line block ×3, first 2 shown]
	v_mov_b32_e32 v50, 3
	v_mul_u32_u24_e32 v39, 6, v42
	v_sub_nc_u16 v38, v43, v1
	v_mov_b32_e32 v43, 0x540
	v_lshlrev_b32_sdwa v74, v50, v36 dst_sel:DWORD dst_unused:UNUSED_PAD src0_sel:DWORD src1_sel:BYTE_0
	v_lshlrev_b32_e32 v39, 3, v39
	v_mul_u32_u24_sdwa v1, v38, v15 dst_sel:DWORD dst_unused:UNUSED_PAD src0_sel:BYTE_0 src1_sel:DWORD
	v_mul_u32_u24_sdwa v73, v35, v43 dst_sel:DWORD dst_unused:UNUSED_PAD src0_sel:WORD_0 src1_sel:DWORD
	v_mul_u32_u24_sdwa v37, v37, v43 dst_sel:DWORD dst_unused:UNUSED_PAD src0_sel:WORD_0 src1_sel:DWORD
	v_lshlrev_b32_sdwa v38, v50, v38 dst_sel:DWORD dst_unused:UNUSED_PAD src0_sel:DWORD src1_sel:BYTE_0
	v_mul_u32_u24_sdwa v51, v33, v43 dst_sel:DWORD dst_unused:UNUSED_PAD src0_sel:WORD_0 src1_sel:DWORD
	v_lshlrev_b32_e32 v0, 3, v1
	s_clause 0x2
	global_load_dwordx4 v[12:15], v0, s[12:13] offset:176
	global_load_dwordx4 v[4:7], v0, s[12:13] offset:192
	;; [unrolled: 1-line block ×3, first 2 shown]
	ds_read2_b64 v[57:60], v52 offset0:112 offset1:168
	ds_read2_b64 v[61:64], v29 offset0:80 offset1:136
	v_lshlrev_b32_sdwa v43, v50, v34 dst_sel:DWORD dst_unused:UNUSED_PAD src0_sel:DWORD src1_sel:BYTE_0
	ds_read2_b64 v[33:36], v29 offset0:192 offset1:248
	ds_read2_b64 v[65:68], v30 offset0:160 offset1:216
	;; [unrolled: 1-line block ×3, first 2 shown]
	v_add3_u32 v93, 0, v73, v74
	ds_read2_b64 v[73:76], v32 offset0:112 offset1:168
	v_add3_u32 v94, 0, v37, v38
	ds_read2_b64 v[77:80], v52 offset1:56
	ds_read2_b64 v[81:84], v31 offset0:96 offset1:152
	ds_read2_b64 v[85:88], v30 offset0:48 offset1:104
	;; [unrolled: 1-line block ×3, first 2 shown]
	ds_read_b64 v[37:38], v52 offset:8960
	v_add3_u32 v43, 0, v51, v43
	s_waitcnt vmcnt(0) lgkmcnt(0)
	s_barrier
	buffer_gl0_inv
	v_mul_f32_e32 v50, v47, v60
	v_mul_f32_e32 v47, v47, v59
	;; [unrolled: 1-line block ×18, first 2 shown]
	v_fma_f32 v50, v46, v59, -v50
	v_fmac_f32_e32 v47, v46, v60
	v_fma_f32 v46, v48, v61, -v51
	v_fmac_f32_e32 v49, v48, v62
	v_mul_f32_e32 v19, v67, v19
	v_mul_f32_e32 v17, v85, v17
	;; [unrolled: 1-line block ×6, first 2 shown]
	v_fma_f32 v35, v53, v35, -v95
	v_fmac_f32_e32 v54, v53, v36
	v_fma_f32 v36, v55, v65, -v96
	v_fmac_f32_e32 v56, v55, v66
	v_mul_f32_e32 v53, v84, v13
	v_mul_f32_e32 v13, v83, v13
	v_fma_f32 v55, v71, v24, -v97
	v_fmac_f32_e32 v25, v72, v24
	v_fma_f32 v24, v73, v26, -v98
	v_fmac_f32_e32 v27, v74, v26
	v_mul_f32_e32 v26, v34, v15
	v_mul_f32_e32 v15, v33, v15
	;; [unrolled: 1-line block ×4, first 2 shown]
	v_fma_f32 v60, v63, v22, -v99
	v_fmac_f32_e32 v23, v64, v22
	v_mul_f32_e32 v22, v70, v7
	v_mul_f32_e32 v7, v69, v7
	v_mul_f32_e32 v61, v92, v1
	v_mul_f32_e32 v1, v91, v1
	v_fma_f32 v62, v81, v20, -v100
	v_fmac_f32_e32 v21, v82, v20
	v_mul_f32_e32 v20, v38, v3
	v_mul_f32_e32 v3, v37, v3
	v_fma_f32 v63, v67, v18, -v102
	v_fmac_f32_e32 v19, v68, v18
	v_fma_f32 v18, v85, v16, -v101
	v_fmac_f32_e32 v17, v86, v16
	;; [unrolled: 2-line block ×10, first 2 shown]
	v_add_f32_e32 v2, v50, v24
	v_add_f32_e32 v20, v47, v27
	v_sub_f32_e32 v22, v50, v24
	v_sub_f32_e32 v24, v47, v27
	v_add_f32_e32 v26, v46, v55
	v_add_f32_e32 v27, v49, v25
	v_sub_f32_e32 v33, v46, v55
	v_add_f32_e32 v34, v35, v36
	v_add_f32_e32 v38, v62, v16
	;; [unrolled: 1-line block ×3, first 2 shown]
	v_sub_f32_e32 v11, v21, v11
	v_add_f32_e32 v21, v60, v10
	v_add_f32_e32 v47, v23, v9
	v_sub_f32_e32 v25, v49, v25
	v_add_f32_e32 v37, v54, v56
	v_sub_f32_e32 v35, v36, v35
	v_sub_f32_e32 v36, v56, v54
	;; [unrolled: 1-line block ×5, first 2 shown]
	v_add_f32_e32 v23, v18, v63
	v_add_f32_e32 v48, v17, v19
	v_sub_f32_e32 v18, v63, v18
	v_sub_f32_e32 v17, v19, v17
	v_add_f32_e32 v19, v8, v0
	v_add_f32_e32 v49, v13, v3
	v_sub_f32_e32 v0, v8, v0
	v_sub_f32_e32 v3, v13, v3
	;; [unrolled: 4-line block ×5, first 2 shown]
	v_sub_f32_e32 v26, v34, v26
	v_add_f32_e32 v59, v21, v38
	v_add_f32_e32 v60, v47, v46
	v_sub_f32_e32 v51, v27, v20
	v_sub_f32_e32 v20, v20, v37
	;; [unrolled: 1-line block ×3, first 2 shown]
	v_add_f32_e32 v53, v35, v33
	v_add_f32_e32 v54, v36, v25
	v_sub_f32_e32 v55, v35, v33
	v_sub_f32_e32 v56, v36, v25
	;; [unrolled: 1-line block ×9, first 2 shown]
	v_add_f32_e32 v63, v18, v10
	v_add_f32_e32 v64, v17, v9
	v_sub_f32_e32 v65, v18, v10
	v_sub_f32_e32 v66, v17, v9
	;; [unrolled: 1-line block ×4, first 2 shown]
	v_add_f32_e32 v67, v8, v19
	v_add_f32_e32 v68, v13, v49
	v_sub_f32_e32 v70, v13, v49
	v_sub_f32_e32 v49, v49, v15
	v_add_f32_e32 v71, v4, v6
	v_sub_f32_e32 v73, v4, v6
	v_add_f32_e32 v7, v34, v7
	v_add_f32_e32 v14, v37, v14
	v_sub_f32_e32 v38, v38, v23
	v_sub_f32_e32 v69, v8, v19
	;; [unrolled: 1-line block ×3, first 2 shown]
	v_add_f32_e32 v72, v5, v1
	v_sub_f32_e32 v74, v5, v1
	v_sub_f32_e32 v76, v3, v5
	v_mul_f32_e32 v2, 0x3f4a47b2, v2
	v_mul_f32_e32 v5, 0x3d64c772, v26
	v_add_f32_e32 v23, v23, v59
	v_add_f32_e32 v48, v48, v60
	v_sub_f32_e32 v35, v22, v35
	v_sub_f32_e32 v36, v24, v36
	;; [unrolled: 1-line block ×9, first 2 shown]
	v_add_f32_e32 v22, v53, v22
	v_add_f32_e32 v24, v54, v24
	v_mul_f32_e32 v4, 0x3f4a47b2, v20
	v_mul_f32_e32 v20, 0x3d64c772, v27
	;; [unrolled: 1-line block ×6, first 2 shown]
	v_add_f32_e32 v16, v63, v16
	v_add_f32_e32 v11, v64, v11
	v_mul_f32_e32 v46, 0x3f4a47b2, v46
	v_mul_f32_e32 v55, 0x3d64c772, v21
	;; [unrolled: 1-line block ×7, first 2 shown]
	v_add_f32_e32 v12, v12, v67
	v_add_f32_e32 v15, v15, v68
	;; [unrolled: 1-line block ×3, first 2 shown]
	v_mul_f32_e32 v49, 0x3f4a47b2, v49
	v_mul_f32_e32 v71, 0xbf08b237, v73
	v_add_f32_e32 v0, v7, v77
	v_add_f32_e32 v1, v14, v78
	v_mul_f32_e32 v38, 0x3f4a47b2, v38
	v_add_f32_e32 v66, v72, v3
	v_mul_f32_e32 v19, 0x3f4a47b2, v19
	v_fmamk_f32 v26, v26, 0x3d64c772, v2
	v_fma_f32 v77, 0x3f3bfb3b, v50, -v5
	v_fma_f32 v50, 0xbf3bfb3b, v50, -v2
	v_add_f32_e32 v2, v23, v79
	v_add_f32_e32 v3, v48, v80
	v_mul_f32_e32 v67, 0x3d64c772, v8
	v_mul_f32_e32 v68, 0x3d64c772, v13
	;; [unrolled: 1-line block ×5, first 2 shown]
	v_fmamk_f32 v27, v27, 0x3d64c772, v4
	v_fma_f32 v20, 0x3f3bfb3b, v51, -v20
	v_fma_f32 v51, 0xbf3bfb3b, v51, -v4
	v_fmamk_f32 v78, v35, 0x3eae86e6, v34
	v_fmamk_f32 v82, v36, 0x3eae86e6, v37
	v_fma_f32 v33, 0x3f5ff5aa, v33, -v34
	v_fma_f32 v25, 0x3f5ff5aa, v25, -v37
	v_fma_f32 v34, 0xbeae86e6, v35, -v53
	v_fma_f32 v35, 0xbeae86e6, v36, -v54
	v_fmamk_f32 v36, v47, 0x3d64c772, v46
	v_fma_f32 v37, 0x3f3bfb3b, v61, -v55
	v_fma_f32 v47, 0x3f3bfb3b, v62, -v56
	v_fmamk_f32 v53, v18, 0x3eae86e6, v59
	v_fmamk_f32 v54, v17, 0x3eae86e6, v60
	v_fma_f32 v55, 0x3f5ff5aa, v10, -v59
	v_fma_f32 v56, 0x3f5ff5aa, v9, -v60
	;; [unrolled: 1-line block ×4, first 2 shown]
	v_add_f32_e32 v4, v12, v57
	v_add_f32_e32 v5, v15, v58
	v_fmamk_f32 v9, v13, 0x3d64c772, v49
	v_fma_f32 v18, 0xbf3bfb3b, v70, -v49
	v_fma_f32 v49, 0x3f5ff5aa, v6, -v71
	v_fmamk_f32 v6, v7, 0xbf955555, v0
	v_fmamk_f32 v7, v14, 0xbf955555, v1
	;; [unrolled: 1-line block ×4, first 2 shown]
	v_fma_f32 v17, 0xbf3bfb3b, v69, -v19
	v_fmamk_f32 v14, v23, 0xbf955555, v2
	v_fmamk_f32 v19, v48, 0xbf955555, v3
	v_fma_f32 v38, 0xbf3bfb3b, v61, -v38
	v_fma_f32 v46, 0xbf3bfb3b, v62, -v46
	;; [unrolled: 1-line block ×4, first 2 shown]
	v_fmamk_f32 v57, v75, 0x3eae86e6, v71
	v_fmamk_f32 v58, v76, 0x3eae86e6, v72
	v_fma_f32 v61, 0x3f5ff5aa, v81, -v72
	v_fma_f32 v62, 0xbeae86e6, v75, -v73
	;; [unrolled: 1-line block ×3, first 2 shown]
	v_fmac_f32_e32 v78, 0x3ee1c552, v22
	v_fmac_f32_e32 v82, 0x3ee1c552, v24
	;; [unrolled: 1-line block ×10, first 2 shown]
	v_fmamk_f32 v11, v12, 0xbf955555, v4
	v_fmamk_f32 v12, v15, 0xbf955555, v5
	v_add_f32_e32 v16, v26, v6
	v_add_f32_e32 v22, v27, v7
	v_fmac_f32_e32 v25, 0x3ee1c552, v24
	v_fmac_f32_e32 v35, 0x3ee1c552, v24
	v_add_f32_e32 v15, v77, v6
	v_add_f32_e32 v20, v20, v7
	;; [unrolled: 1-line block ×6, first 2 shown]
	v_fmac_f32_e32 v57, 0x3ee1c552, v65
	v_fmac_f32_e32 v58, 0x3ee1c552, v66
	;; [unrolled: 1-line block ×6, first 2 shown]
	v_add_f32_e32 v26, v37, v14
	v_add_f32_e32 v27, v47, v19
	;; [unrolled: 1-line block ×11, first 2 shown]
	v_sub_f32_e32 v7, v22, v78
	v_add_f32_e32 v8, v35, v23
	v_sub_f32_e32 v9, v24, v34
	v_sub_f32_e32 v10, v15, v25
	v_add_f32_e32 v11, v33, v20
	v_add_f32_e32 v12, v25, v15
	v_sub_f32_e32 v13, v20, v33
	v_sub_f32_e32 v14, v23, v35
	v_add_f32_e32 v15, v34, v24
	v_sub_f32_e32 v16, v16, v82
	v_add_f32_e32 v17, v78, v22
	v_add_f32_e32 v18, v54, v48
	v_sub_f32_e32 v19, v36, v53
	v_add_f32_e32 v20, v60, v37
	v_sub_f32_e32 v21, v38, v59
	v_sub_f32_e32 v22, v26, v56
	v_add_f32_e32 v23, v55, v27
	v_add_f32_e32 v24, v56, v26
	v_sub_f32_e32 v25, v27, v55
	v_sub_f32_e32 v26, v37, v60
	v_add_f32_e32 v27, v59, v38
	v_sub_f32_e32 v33, v48, v54
	v_add_f32_e32 v34, v53, v36
	v_add_f32_e32 v35, v58, v64
	v_sub_f32_e32 v36, v65, v57
	v_add_f32_e32 v37, v63, v66
	v_sub_f32_e32 v38, v67, v62
	v_sub_f32_e32 v46, v50, v61
	v_add_f32_e32 v47, v49, v51
	v_add_f32_e32 v48, v61, v50
	v_sub_f32_e32 v49, v51, v49
	v_sub_f32_e32 v50, v66, v63
	v_add_f32_e32 v51, v62, v67
	v_sub_f32_e32 v53, v64, v58
	v_add_f32_e32 v54, v57, v65
	ds_write2_b64 v43, v[0:1], v[6:7] offset1:24
	ds_write2_b64 v43, v[8:9], v[10:11] offset0:48 offset1:72
	ds_write2_b64 v43, v[12:13], v[14:15] offset0:96 offset1:120
	ds_write_b64 v43, v[16:17] offset:1152
	ds_write2_b64 v93, v[2:3], v[18:19] offset1:24
	ds_write2_b64 v93, v[20:21], v[22:23] offset0:48 offset1:72
	ds_write2_b64 v93, v[24:25], v[26:27] offset0:96 offset1:120
	ds_write_b64 v93, v[33:34] offset:1152
	;; [unrolled: 4-line block ×3, first 2 shown]
	v_add_co_u32 v4, s0, s12, v39
	v_add_co_ci_u32_e64 v5, null, s13, 0, s0
	s_waitcnt lgkmcnt(0)
	v_add_co_u32 v0, s0, 0x800, v4
	v_add_co_ci_u32_e64 v1, s0, 0, v5, s0
	v_add_co_u32 v2, s0, 0xfb0, v4
	v_add_co_ci_u32_e64 v3, s0, 0, v5, s0
	s_barrier
	buffer_gl0_inv
	s_clause 0x5
	global_load_dwordx4 v[8:11], v39, s[12:13] offset:1328
	global_load_dwordx4 v[12:15], v39, s[12:13] offset:1344
	;; [unrolled: 1-line block ×3, first 2 shown]
	global_load_dwordx4 v[20:23], v[0:1], off offset:1968
	global_load_dwordx4 v[24:27], v[2:3], off offset:16
	;; [unrolled: 1-line block ×3, first 2 shown]
	v_add_co_u32 v0, s0, 0x1800, v4
	v_add_co_ci_u32_e64 v1, s0, 0, v5, s0
	global_load_dwordx4 v[46:49], v[0:1], off offset:560
	v_add_co_u32 v0, s0, 0x1a30, v4
	v_add_co_ci_u32_e64 v1, s0, 0, v5, s0
	s_clause 0x1
	global_load_dwordx4 v[53:56], v[0:1], off offset:16
	global_load_dwordx4 v[57:60], v[0:1], off offset:32
	ds_read2_b64 v[0:3], v52 offset0:112 offset1:168
	ds_read2_b64 v[61:64], v29 offset0:80 offset1:136
	;; [unrolled: 1-line block ×7, first 2 shown]
	ds_read2_b64 v[4:7], v52 offset1:56
	ds_read2_b64 v[85:88], v30 offset0:48 offset1:104
	ds_read2_b64 v[89:92], v28 offset0:128 offset1:184
	ds_read_b64 v[37:38], v52 offset:8960
	s_waitcnt vmcnt(0) lgkmcnt(0)
	s_barrier
	buffer_gl0_inv
	v_mul_f32_e32 v39, v9, v3
	v_mul_f32_e32 v9, v9, v2
	;; [unrolled: 1-line block ×22, first 2 shown]
	v_fma_f32 v2, v8, v2, -v39
	v_fmac_f32_e32 v9, v8, v3
	v_fma_f32 v3, v10, v61, -v43
	v_fmac_f32_e32 v11, v10, v62
	v_mul_f32_e32 v8, v80, v36
	v_mul_f32_e32 v10, v79, v36
	v_mul_f32_e32 v36, v84, v47
	v_mul_f32_e32 v39, v83, v47
	v_fma_f32 v43, v12, v67, -v50
	v_fmac_f32_e32 v13, v12, v68
	v_fma_f32 v12, v14, v69, -v51
	v_fmac_f32_e32 v15, v14, v70
	v_mul_f32_e32 v14, v66, v49
	v_mul_f32_e32 v47, v65, v49
	v_mul_f32_e32 v49, v88, v54
	v_mul_f32_e32 v50, v87, v54
	;; [unrolled: 8-line block ×3, first 2 shown]
	v_fma_f32 v61, v63, v22, -v96
	v_fmac_f32_e32 v23, v64, v22
	v_mul_f32_e32 v22, v38, v60
	v_mul_f32_e32 v60, v37, v60
	v_fma_f32 v62, v81, v20, -v95
	v_fmac_f32_e32 v21, v82, v20
	v_fma_f32 v20, v71, v26, -v98
	v_fmac_f32_e32 v27, v72, v26
	;; [unrolled: 2-line block ×11, first 2 shown]
	v_add_f32_e32 v37, v2, v16
	v_add_f32_e32 v38, v9, v19
	v_sub_f32_e32 v2, v2, v16
	v_sub_f32_e32 v9, v9, v19
	v_add_f32_e32 v16, v3, v51
	v_add_f32_e32 v19, v11, v17
	v_sub_f32_e32 v3, v3, v51
	v_sub_f32_e32 v11, v11, v17
	v_add_f32_e32 v17, v43, v12
	v_add_f32_e32 v46, v13, v15
	v_sub_f32_e32 v12, v12, v43
	v_sub_f32_e32 v13, v15, v13
	v_add_f32_e32 v15, v62, v8
	v_add_f32_e32 v43, v21, v10
	v_sub_f32_e32 v10, v21, v10
	v_add_f32_e32 v21, v61, v24
	v_add_f32_e32 v48, v23, v34
	v_sub_f32_e32 v8, v62, v8
	v_sub_f32_e32 v24, v61, v24
	;; [unrolled: 1-line block ×3, first 2 shown]
	v_add_f32_e32 v34, v26, v20
	v_add_f32_e32 v49, v25, v27
	v_sub_f32_e32 v20, v20, v26
	v_sub_f32_e32 v25, v27, v25
	v_add_f32_e32 v26, v33, v22
	v_add_f32_e32 v27, v39, v60
	v_sub_f32_e32 v22, v33, v22
	v_sub_f32_e32 v33, v39, v60
	;; [unrolled: 4-line block ×5, first 2 shown]
	v_sub_f32_e32 v19, v46, v19
	v_add_f32_e32 v57, v12, v3
	v_add_f32_e32 v58, v13, v11
	v_sub_f32_e32 v59, v12, v3
	v_sub_f32_e32 v60, v13, v11
	;; [unrolled: 1-line block ×4, first 2 shown]
	v_add_f32_e32 v3, v21, v15
	v_add_f32_e32 v62, v48, v43
	v_sub_f32_e32 v55, v16, v37
	v_sub_f32_e32 v37, v37, v17
	;; [unrolled: 1-line block ×3, first 2 shown]
	v_add_f32_e32 v65, v20, v24
	v_add_f32_e32 v66, v25, v23
	v_sub_f32_e32 v67, v20, v24
	v_sub_f32_e32 v68, v25, v23
	;; [unrolled: 1-line block ×4, first 2 shown]
	v_add_f32_e32 v69, v39, v26
	v_add_f32_e32 v70, v51, v27
	v_sub_f32_e32 v13, v9, v13
	v_sub_f32_e32 v63, v21, v15
	;; [unrolled: 1-line block ×7, first 2 shown]
	v_add_f32_e32 v73, v18, v14
	v_add_f32_e32 v74, v35, v36
	v_sub_f32_e32 v75, v18, v14
	v_sub_f32_e32 v76, v35, v36
	v_sub_f32_e32 v14, v14, v22
	v_sub_f32_e32 v36, v36, v33
	v_add_f32_e32 v17, v17, v50
	v_add_f32_e32 v46, v46, v54
	;; [unrolled: 1-line block ×4, first 2 shown]
	v_mul_f32_e32 v38, 0x3f4a47b2, v38
	v_mul_f32_e32 v57, 0x3d64c772, v19
	;; [unrolled: 1-line block ×5, first 2 shown]
	v_add_f32_e32 v34, v34, v3
	v_add_f32_e32 v49, v49, v62
	v_sub_f32_e32 v12, v2, v12
	v_sub_f32_e32 v20, v8, v20
	;; [unrolled: 1-line block ×9, first 2 shown]
	v_mul_f32_e32 v37, 0x3f4a47b2, v37
	v_mul_f32_e32 v54, 0x3d64c772, v16
	;; [unrolled: 1-line block ×3, first 2 shown]
	v_add_f32_e32 v10, v66, v10
	v_mul_f32_e32 v66, 0xbf08b237, v67
	v_mul_f32_e32 v67, 0xbf08b237, v68
	;; [unrolled: 1-line block ×4, first 2 shown]
	v_add_f32_e32 v47, v47, v69
	v_add_f32_e32 v53, v53, v70
	v_sub_f32_e32 v18, v22, v18
	v_sub_f32_e32 v35, v33, v35
	v_add_f32_e32 v8, v65, v8
	v_mul_f32_e32 v15, 0x3f4a47b2, v15
	v_mul_f32_e32 v43, 0x3f4a47b2, v43
	;; [unrolled: 1-line block ×4, first 2 shown]
	v_add_f32_e32 v22, v73, v22
	v_add_f32_e32 v33, v74, v33
	v_mul_f32_e32 v73, 0xbf08b237, v75
	v_mul_f32_e32 v74, 0xbf08b237, v76
	;; [unrolled: 1-line block ×4, first 2 shown]
	v_add_f32_e32 v2, v4, v17
	v_add_f32_e32 v3, v5, v46
	v_fmamk_f32 v19, v19, 0x3d64c772, v38
	v_fma_f32 v57, 0x3f3bfb3b, v56, -v57
	v_fma_f32 v38, 0xbf3bfb3b, v56, -v38
	v_fmamk_f32 v56, v13, 0x3eae86e6, v59
	v_fma_f32 v11, 0x3f5ff5aa, v11, -v59
	v_fma_f32 v13, 0xbeae86e6, v13, -v77
	v_add_f32_e32 v4, v6, v34
	v_add_f32_e32 v5, v7, v49
	v_mul_f32_e32 v26, 0x3f4a47b2, v26
	v_mul_f32_e32 v27, 0x3f4a47b2, v27
	v_fmamk_f32 v16, v16, 0x3d64c772, v37
	v_fma_f32 v54, 0x3f3bfb3b, v55, -v54
	v_fma_f32 v37, 0xbf3bfb3b, v55, -v37
	v_fmamk_f32 v55, v12, 0x3eae86e6, v58
	v_fma_f32 v58, 0x3f5ff5aa, v61, -v58
	v_fma_f32 v12, 0xbeae86e6, v12, -v60
	v_fmamk_f32 v59, v20, 0x3eae86e6, v66
	v_fmamk_f32 v60, v25, 0x3eae86e6, v67
	v_fma_f32 v24, 0x3f5ff5aa, v24, -v66
	v_fma_f32 v23, 0x3f5ff5aa, v23, -v67
	;; [unrolled: 1-line block ×4, first 2 shown]
	v_add_f32_e32 v0, v0, v47
	v_add_f32_e32 v1, v1, v53
	v_mul_f32_e32 v69, 0x3d64c772, v39
	v_mul_f32_e32 v70, 0x3d64c772, v51
	v_fmamk_f32 v6, v21, 0x3d64c772, v15
	v_fmamk_f32 v7, v48, 0x3d64c772, v43
	v_fma_f32 v21, 0x3f3bfb3b, v63, -v62
	v_fma_f32 v48, 0x3f3bfb3b, v64, -v65
	;; [unrolled: 1-line block ×4, first 2 shown]
	v_fmamk_f32 v63, v18, 0x3eae86e6, v73
	v_fmamk_f32 v64, v35, 0x3eae86e6, v74
	v_fma_f32 v65, 0x3f5ff5aa, v14, -v73
	v_fma_f32 v66, 0x3f5ff5aa, v36, -v74
	;; [unrolled: 1-line block ×4, first 2 shown]
	v_fmamk_f32 v14, v17, 0xbf955555, v2
	v_fmamk_f32 v17, v46, 0xbf955555, v3
	v_fmac_f32_e32 v56, 0x3ee1c552, v9
	v_fmac_f32_e32 v11, 0x3ee1c552, v9
	;; [unrolled: 1-line block ×3, first 2 shown]
	v_fmamk_f32 v9, v34, 0xbf955555, v4
	v_fmamk_f32 v18, v49, 0xbf955555, v5
	v_fmamk_f32 v20, v39, 0x3d64c772, v26
	v_fmamk_f32 v39, v51, 0x3d64c772, v27
	v_fmac_f32_e32 v59, 0x3ee1c552, v8
	v_fmac_f32_e32 v60, 0x3ee1c552, v10
	;; [unrolled: 1-line block ×6, first 2 shown]
	v_fmamk_f32 v8, v47, 0xbf955555, v0
	v_fmamk_f32 v10, v53, 0xbf955555, v1
	v_fma_f32 v51, 0x3f3bfb3b, v71, -v69
	v_fma_f32 v62, 0x3f3bfb3b, v72, -v70
	;; [unrolled: 1-line block ×4, first 2 shown]
	v_fmac_f32_e32 v12, 0x3ee1c552, v50
	v_fmac_f32_e32 v63, 0x3ee1c552, v22
	;; [unrolled: 1-line block ×7, first 2 shown]
	v_add_f32_e32 v16, v16, v14
	v_add_f32_e32 v19, v19, v17
	;; [unrolled: 1-line block ×8, first 2 shown]
	v_fmac_f32_e32 v58, 0x3ee1c552, v50
	v_add_f32_e32 v21, v21, v9
	v_add_f32_e32 v36, v48, v18
	v_fmac_f32_e32 v55, 0x3ee1c552, v50
	v_add_f32_e32 v34, v6, v9
	v_add_f32_e32 v35, v7, v18
	;; [unrolled: 1-line block ×4, first 2 shown]
	ds_write2_b64 v52, v[2:3], v[4:5] offset1:56
	v_add_f32_e32 v46, v51, v8
	v_add_f32_e32 v47, v62, v10
	;; [unrolled: 1-line block ×6, first 2 shown]
	v_sub_f32_e32 v5, v17, v12
	v_sub_f32_e32 v6, v22, v11
	v_add_f32_e32 v8, v11, v22
	v_add_f32_e32 v11, v12, v17
	v_sub_f32_e32 v12, v16, v56
	v_add_f32_e32 v16, v25, v37
	v_sub_f32_e32 v17, v38, v61
	v_sub_f32_e32 v9, v33, v58
	;; [unrolled: 1-line block ×3, first 2 shown]
	v_add_f32_e32 v20, v23, v21
	v_sub_f32_e32 v21, v36, v24
	v_sub_f32_e32 v3, v19, v55
	;; [unrolled: 1-line block ×3, first 2 shown]
	v_add_f32_e32 v13, v55, v19
	v_add_f32_e32 v19, v24, v36
	v_sub_f32_e32 v22, v37, v25
	v_sub_f32_e32 v24, v34, v60
	v_add_f32_e32 v25, v59, v35
	v_add_f32_e32 v14, v60, v34
	v_sub_f32_e32 v15, v35, v59
	v_add_f32_e32 v26, v64, v43
	v_sub_f32_e32 v27, v39, v63
	v_add_f32_e32 v7, v58, v33
	v_add_f32_e32 v23, v61, v38
	;; [unrolled: 1-line block ×3, first 2 shown]
	v_sub_f32_e32 v34, v49, v67
	v_sub_f32_e32 v35, v46, v66
	v_add_f32_e32 v36, v65, v47
	v_add_f32_e32 v37, v66, v46
	v_sub_f32_e32 v38, v47, v65
	v_sub_f32_e32 v46, v48, v68
	v_add_f32_e32 v47, v67, v49
	v_sub_f32_e32 v48, v43, v64
	v_add_f32_e32 v49, v63, v39
	ds_write2_b64 v29, v[4:5], v[16:17] offset0:80 offset1:136
	ds_write2_b64 v30, v[8:9], v[20:21] offset0:160 offset1:216
	;; [unrolled: 1-line block ×9, first 2 shown]
	ds_write_b64 v52, v[48:49] offset:8960
	s_waitcnt lgkmcnt(0)
	s_barrier
	buffer_gl0_inv
	s_and_saveexec_b32 s0, vcc_lo
	s_cbranch_execz .LBB0_33
; %bb.32:
	v_mul_lo_u32 v0, s3, v44
	v_mul_lo_u32 v1, s2, v45
	v_mad_u64_u32 v[4:5], null, s2, v44, 0
	v_lshl_add_u32 v22, v42, 3, 0
	v_mov_b32_e32 v43, 0
	v_lshlrev_b64 v[8:9], 3, v[40:41]
	v_add_nc_u32_e32 v10, 56, v42
	v_add_nc_u32_e32 v12, 0x70, v42
	;; [unrolled: 1-line block ×3, first 2 shown]
	v_add3_u32 v5, v5, v1, v0
	ds_read2_b64 v[0:3], v22 offset1:56
	v_mov_b32_e32 v11, v43
	v_lshlrev_b64 v[16:17], 3, v[42:43]
	v_mov_b32_e32 v13, v43
	v_lshlrev_b64 v[14:15], 3, v[4:5]
	ds_read2_b64 v[4:7], v22 offset0:112 offset1:168
	v_lshlrev_b64 v[10:11], 3, v[10:11]
	v_add_nc_u32_e32 v18, 0x188, v42
	v_mov_b32_e32 v19, v43
	v_add_nc_u32_e32 v25, 0x1000, v22
	v_add_co_u32 v14, vcc_lo, s10, v14
	v_add_co_ci_u32_e32 v15, vcc_lo, s11, v15, vcc_lo
	v_lshlrev_b64 v[18:19], 3, v[18:19]
	v_add_co_u32 v23, vcc_lo, v14, v8
	v_add_co_ci_u32_e32 v24, vcc_lo, v15, v9, vcc_lo
	v_lshlrev_b64 v[8:9], 3, v[12:13]
	v_add_co_u32 v12, vcc_lo, v23, v16
	v_add_co_ci_u32_e32 v13, vcc_lo, v24, v17, vcc_lo
	v_add_co_u32 v10, vcc_lo, v23, v10
	v_add_co_ci_u32_e32 v11, vcc_lo, v24, v11, vcc_lo
	v_add_co_u32 v8, vcc_lo, v23, v8
	v_add_nc_u32_e32 v14, 0xa8, v42
	v_mov_b32_e32 v15, v43
	v_add_co_ci_u32_e32 v9, vcc_lo, v24, v9, vcc_lo
	s_waitcnt lgkmcnt(1)
	global_store_dwordx2 v[12:13], v[0:1], off
	global_store_dwordx2 v[10:11], v[2:3], off
	s_waitcnt lgkmcnt(0)
	global_store_dwordx2 v[8:9], v[4:5], off
	v_lshlrev_b64 v[0:1], 3, v[14:15]
	v_add_nc_u32_e32 v2, 0x400, v22
	v_add_nc_u32_e32 v8, 0x118, v42
	v_mov_b32_e32 v9, v43
	v_add_nc_u32_e32 v4, 0xe0, v42
	v_mov_b32_e32 v5, v43
	v_add_co_u32 v12, vcc_lo, v23, v0
	v_add_co_ci_u32_e32 v13, vcc_lo, v24, v1, vcc_lo
	ds_read2_b64 v[0:3], v2 offset0:96 offset1:152
	v_lshlrev_b64 v[14:15], 3, v[8:9]
	ds_read2_b64 v[8:11], v20 offset0:80 offset1:136
	v_lshlrev_b64 v[4:5], 3, v[4:5]
	v_add_nc_u32_e32 v16, 0x150, v42
	v_mov_b32_e32 v17, v43
	v_mov_b32_e32 v21, v43
	v_add_co_u32 v4, vcc_lo, v23, v4
	v_lshlrev_b64 v[16:17], 3, v[16:17]
	v_add_co_ci_u32_e32 v5, vcc_lo, v24, v5, vcc_lo
	v_add_co_u32 v14, vcc_lo, v23, v14
	v_add_co_ci_u32_e32 v15, vcc_lo, v24, v15, vcc_lo
	v_add_co_u32 v16, vcc_lo, v23, v16
	v_add_co_ci_u32_e32 v17, vcc_lo, v24, v17, vcc_lo
	global_store_dwordx2 v[12:13], v[6:7], off
	s_waitcnt lgkmcnt(1)
	global_store_dwordx2 v[4:5], v[0:1], off
	global_store_dwordx2 v[14:15], v[2:3], off
	s_waitcnt lgkmcnt(0)
	global_store_dwordx2 v[16:17], v[8:9], off
	v_add_nc_u32_e32 v4, 0x1c0, v42
	v_mov_b32_e32 v5, v43
	v_add_co_u32 v0, vcc_lo, v23, v18
	v_add_co_ci_u32_e32 v1, vcc_lo, v24, v19, vcc_lo
	v_add_nc_u32_e32 v6, 0x1f8, v42
	v_mov_b32_e32 v7, v43
	v_lshlrev_b64 v[8:9], 3, v[4:5]
	global_store_dwordx2 v[0:1], v[10:11], off
	ds_read2_b64 v[0:3], v20 offset0:192 offset1:248
	v_add_nc_u32_e32 v12, 0x230, v42
	v_mov_b32_e32 v13, v43
	v_lshlrev_b64 v[10:11], 3, v[6:7]
	ds_read2_b64 v[4:7], v25 offset0:48 offset1:104
	v_add_co_u32 v14, vcc_lo, v23, v8
	v_add_co_ci_u32_e32 v15, vcc_lo, v24, v9, vcc_lo
	v_lshlrev_b64 v[8:9], 3, v[12:13]
	v_add_co_u32 v12, vcc_lo, v23, v10
	v_add_co_ci_u32_e32 v13, vcc_lo, v24, v11, vcc_lo
	v_add_nc_u32_e32 v16, 0x268, v42
	v_add_co_u32 v18, vcc_lo, v23, v8
	v_mov_b32_e32 v17, v43
	v_add_co_ci_u32_e32 v19, vcc_lo, v24, v9, vcc_lo
	ds_read2_b64 v[8:11], v25 offset0:160 offset1:216
	v_add_nc_u32_e32 v20, 0x2a0, v42
	v_lshlrev_b64 v[16:17], 3, v[16:17]
	s_waitcnt lgkmcnt(2)
	global_store_dwordx2 v[14:15], v[0:1], off
	global_store_dwordx2 v[12:13], v[2:3], off
	s_waitcnt lgkmcnt(1)
	global_store_dwordx2 v[18:19], v[4:5], off
	v_add_nc_u32_e32 v14, 0x1800, v22
	v_add_nc_u32_e32 v4, 0x2d8, v42
	v_lshlrev_b64 v[0:1], 3, v[20:21]
	v_mov_b32_e32 v5, v43
	v_add_co_u32 v2, vcc_lo, v23, v16
	v_add_co_ci_u32_e32 v3, vcc_lo, v24, v17, vcc_lo
	v_add_co_u32 v0, vcc_lo, v23, v0
	v_add_co_ci_u32_e32 v1, vcc_lo, v24, v1, vcc_lo
	global_store_dwordx2 v[2:3], v[6:7], off
	s_waitcnt lgkmcnt(0)
	global_store_dwordx2 v[0:1], v[8:9], off
	v_add_nc_u32_e32 v12, 0x310, v42
	v_mov_b32_e32 v13, v43
	ds_read2_b64 v[0:3], v14 offset0:16 offset1:72
	v_lshlrev_b64 v[4:5], 3, v[4:5]
	v_add_nc_u32_e32 v8, 0x348, v42
	v_mov_b32_e32 v9, v43
	v_lshlrev_b64 v[6:7], 3, v[12:13]
	v_add_nc_u32_e32 v12, 0x380, v42
	v_mov_b32_e32 v15, v43
	v_add_co_u32 v4, vcc_lo, v23, v4
	v_lshlrev_b64 v[8:9], 3, v[8:9]
	v_add_co_ci_u32_e32 v5, vcc_lo, v24, v5, vcc_lo
	v_add_co_u32 v6, vcc_lo, v23, v6
	v_add_co_ci_u32_e32 v7, vcc_lo, v24, v7, vcc_lo
	v_add_co_u32 v8, vcc_lo, v23, v8
	v_add_co_ci_u32_e32 v9, vcc_lo, v24, v9, vcc_lo
	global_store_dwordx2 v[4:5], v[10:11], off
	s_waitcnt lgkmcnt(0)
	global_store_dwordx2 v[6:7], v[0:1], off
	global_store_dwordx2 v[8:9], v[2:3], off
	v_lshlrev_b64 v[4:5], 3, v[12:13]
	ds_read2_b64 v[0:3], v14 offset0:128 offset1:184
	v_add_nc_u32_e32 v6, 0x3b8, v42
	v_mov_b32_e32 v7, v43
	v_add_nc_u32_e32 v14, 0x1c00, v22
	v_add_nc_u32_e32 v8, 0x3f0, v42
	v_mov_b32_e32 v9, v43
	v_add_co_u32 v10, vcc_lo, v23, v4
	v_add_co_ci_u32_e32 v11, vcc_lo, v24, v5, vcc_lo
	v_lshlrev_b64 v[12:13], 3, v[6:7]
	ds_read2_b64 v[4:7], v14 offset0:112 offset1:168
	v_add_nc_u32_e32 v14, 0x428, v42
	ds_read_b64 v[16:17], v22 offset:8960
	v_lshlrev_b64 v[8:9], 3, v[8:9]
	v_add_nc_u32_e32 v42, 0x460, v42
	v_add_co_u32 v12, vcc_lo, v23, v12
	v_lshlrev_b64 v[14:15], 3, v[14:15]
	v_add_co_ci_u32_e32 v13, vcc_lo, v24, v13, vcc_lo
	v_add_co_u32 v8, vcc_lo, v23, v8
	v_lshlrev_b64 v[18:19], 3, v[42:43]
	v_add_co_ci_u32_e32 v9, vcc_lo, v24, v9, vcc_lo
	v_add_co_u32 v14, vcc_lo, v23, v14
	v_add_co_ci_u32_e32 v15, vcc_lo, v24, v15, vcc_lo
	v_add_co_u32 v18, vcc_lo, v23, v18
	v_add_co_ci_u32_e32 v19, vcc_lo, v24, v19, vcc_lo
	s_waitcnt lgkmcnt(2)
	global_store_dwordx2 v[10:11], v[0:1], off
	global_store_dwordx2 v[12:13], v[2:3], off
	s_waitcnt lgkmcnt(1)
	global_store_dwordx2 v[8:9], v[4:5], off
	global_store_dwordx2 v[14:15], v[6:7], off
	s_waitcnt lgkmcnt(0)
	global_store_dwordx2 v[18:19], v[16:17], off
.LBB0_33:
	s_endpgm
	.section	.rodata,"a",@progbits
	.p2align	6, 0x0
	.amdhsa_kernel fft_rtc_fwd_len1176_factors_2_2_2_3_7_7_wgs_56_tpt_56_halfLds_sp_op_CI_CI_unitstride_sbrr_C2R_dirReg
		.amdhsa_group_segment_fixed_size 0
		.amdhsa_private_segment_fixed_size 0
		.amdhsa_kernarg_size 104
		.amdhsa_user_sgpr_count 6
		.amdhsa_user_sgpr_private_segment_buffer 1
		.amdhsa_user_sgpr_dispatch_ptr 0
		.amdhsa_user_sgpr_queue_ptr 0
		.amdhsa_user_sgpr_kernarg_segment_ptr 1
		.amdhsa_user_sgpr_dispatch_id 0
		.amdhsa_user_sgpr_flat_scratch_init 0
		.amdhsa_user_sgpr_private_segment_size 0
		.amdhsa_wavefront_size32 1
		.amdhsa_uses_dynamic_stack 0
		.amdhsa_system_sgpr_private_segment_wavefront_offset 0
		.amdhsa_system_sgpr_workgroup_id_x 1
		.amdhsa_system_sgpr_workgroup_id_y 0
		.amdhsa_system_sgpr_workgroup_id_z 0
		.amdhsa_system_sgpr_workgroup_info 0
		.amdhsa_system_vgpr_workitem_id 0
		.amdhsa_next_free_vgpr 103
		.amdhsa_next_free_sgpr 27
		.amdhsa_reserve_vcc 1
		.amdhsa_reserve_flat_scratch 0
		.amdhsa_float_round_mode_32 0
		.amdhsa_float_round_mode_16_64 0
		.amdhsa_float_denorm_mode_32 3
		.amdhsa_float_denorm_mode_16_64 3
		.amdhsa_dx10_clamp 1
		.amdhsa_ieee_mode 1
		.amdhsa_fp16_overflow 0
		.amdhsa_workgroup_processor_mode 1
		.amdhsa_memory_ordered 1
		.amdhsa_forward_progress 0
		.amdhsa_shared_vgpr_count 0
		.amdhsa_exception_fp_ieee_invalid_op 0
		.amdhsa_exception_fp_denorm_src 0
		.amdhsa_exception_fp_ieee_div_zero 0
		.amdhsa_exception_fp_ieee_overflow 0
		.amdhsa_exception_fp_ieee_underflow 0
		.amdhsa_exception_fp_ieee_inexact 0
		.amdhsa_exception_int_div_zero 0
	.end_amdhsa_kernel
	.text
.Lfunc_end0:
	.size	fft_rtc_fwd_len1176_factors_2_2_2_3_7_7_wgs_56_tpt_56_halfLds_sp_op_CI_CI_unitstride_sbrr_C2R_dirReg, .Lfunc_end0-fft_rtc_fwd_len1176_factors_2_2_2_3_7_7_wgs_56_tpt_56_halfLds_sp_op_CI_CI_unitstride_sbrr_C2R_dirReg
                                        ; -- End function
	.section	.AMDGPU.csdata,"",@progbits
; Kernel info:
; codeLenInByte = 12968
; NumSgprs: 29
; NumVgprs: 103
; ScratchSize: 0
; MemoryBound: 0
; FloatMode: 240
; IeeeMode: 1
; LDSByteSize: 0 bytes/workgroup (compile time only)
; SGPRBlocks: 3
; VGPRBlocks: 12
; NumSGPRsForWavesPerEU: 29
; NumVGPRsForWavesPerEU: 103
; Occupancy: 9
; WaveLimiterHint : 1
; COMPUTE_PGM_RSRC2:SCRATCH_EN: 0
; COMPUTE_PGM_RSRC2:USER_SGPR: 6
; COMPUTE_PGM_RSRC2:TRAP_HANDLER: 0
; COMPUTE_PGM_RSRC2:TGID_X_EN: 1
; COMPUTE_PGM_RSRC2:TGID_Y_EN: 0
; COMPUTE_PGM_RSRC2:TGID_Z_EN: 0
; COMPUTE_PGM_RSRC2:TIDIG_COMP_CNT: 0
	.text
	.p2alignl 6, 3214868480
	.fill 48, 4, 3214868480
	.type	__hip_cuid_4b6cf970fc27be59,@object ; @__hip_cuid_4b6cf970fc27be59
	.section	.bss,"aw",@nobits
	.globl	__hip_cuid_4b6cf970fc27be59
__hip_cuid_4b6cf970fc27be59:
	.byte	0                               ; 0x0
	.size	__hip_cuid_4b6cf970fc27be59, 1

	.ident	"AMD clang version 19.0.0git (https://github.com/RadeonOpenCompute/llvm-project roc-6.4.0 25133 c7fe45cf4b819c5991fe208aaa96edf142730f1d)"
	.section	".note.GNU-stack","",@progbits
	.addrsig
	.addrsig_sym __hip_cuid_4b6cf970fc27be59
	.amdgpu_metadata
---
amdhsa.kernels:
  - .args:
      - .actual_access:  read_only
        .address_space:  global
        .offset:         0
        .size:           8
        .value_kind:     global_buffer
      - .offset:         8
        .size:           8
        .value_kind:     by_value
      - .actual_access:  read_only
        .address_space:  global
        .offset:         16
        .size:           8
        .value_kind:     global_buffer
      - .actual_access:  read_only
        .address_space:  global
        .offset:         24
        .size:           8
        .value_kind:     global_buffer
      - .actual_access:  read_only
        .address_space:  global
        .offset:         32
        .size:           8
        .value_kind:     global_buffer
      - .offset:         40
        .size:           8
        .value_kind:     by_value
      - .actual_access:  read_only
        .address_space:  global
        .offset:         48
        .size:           8
        .value_kind:     global_buffer
      - .actual_access:  read_only
        .address_space:  global
        .offset:         56
        .size:           8
        .value_kind:     global_buffer
      - .offset:         64
        .size:           4
        .value_kind:     by_value
      - .actual_access:  read_only
        .address_space:  global
        .offset:         72
        .size:           8
        .value_kind:     global_buffer
      - .actual_access:  read_only
        .address_space:  global
        .offset:         80
        .size:           8
        .value_kind:     global_buffer
      - .actual_access:  read_only
        .address_space:  global
        .offset:         88
        .size:           8
        .value_kind:     global_buffer
      - .actual_access:  write_only
        .address_space:  global
        .offset:         96
        .size:           8
        .value_kind:     global_buffer
    .group_segment_fixed_size: 0
    .kernarg_segment_align: 8
    .kernarg_segment_size: 104
    .language:       OpenCL C
    .language_version:
      - 2
      - 0
    .max_flat_workgroup_size: 56
    .name:           fft_rtc_fwd_len1176_factors_2_2_2_3_7_7_wgs_56_tpt_56_halfLds_sp_op_CI_CI_unitstride_sbrr_C2R_dirReg
    .private_segment_fixed_size: 0
    .sgpr_count:     29
    .sgpr_spill_count: 0
    .symbol:         fft_rtc_fwd_len1176_factors_2_2_2_3_7_7_wgs_56_tpt_56_halfLds_sp_op_CI_CI_unitstride_sbrr_C2R_dirReg.kd
    .uniform_work_group_size: 1
    .uses_dynamic_stack: false
    .vgpr_count:     103
    .vgpr_spill_count: 0
    .wavefront_size: 32
    .workgroup_processor_mode: 1
amdhsa.target:   amdgcn-amd-amdhsa--gfx1030
amdhsa.version:
  - 1
  - 2
...

	.end_amdgpu_metadata
